;; amdgpu-corpus repo=ROCm/rocFFT kind=compiled arch=gfx950 opt=O3
	.text
	.amdgcn_target "amdgcn-amd-amdhsa--gfx950"
	.amdhsa_code_object_version 6
	.protected	fft_rtc_back_len80_factors_5_2_8_wgs_60_tpt_10_halfLds_dp_op_CI_CI_unitstride_sbrr_R2C_dirReg ; -- Begin function fft_rtc_back_len80_factors_5_2_8_wgs_60_tpt_10_halfLds_dp_op_CI_CI_unitstride_sbrr_R2C_dirReg
	.globl	fft_rtc_back_len80_factors_5_2_8_wgs_60_tpt_10_halfLds_dp_op_CI_CI_unitstride_sbrr_R2C_dirReg
	.p2align	8
	.type	fft_rtc_back_len80_factors_5_2_8_wgs_60_tpt_10_halfLds_dp_op_CI_CI_unitstride_sbrr_R2C_dirReg,@function
fft_rtc_back_len80_factors_5_2_8_wgs_60_tpt_10_halfLds_dp_op_CI_CI_unitstride_sbrr_R2C_dirReg: ; @fft_rtc_back_len80_factors_5_2_8_wgs_60_tpt_10_halfLds_dp_op_CI_CI_unitstride_sbrr_R2C_dirReg
; %bb.0:
	s_load_dwordx4 s[4:7], s[0:1], 0x58
	s_load_dwordx4 s[8:11], s[0:1], 0x0
	;; [unrolled: 1-line block ×3, first 2 shown]
	v_mul_u32_u24_e32 v1, 0x199a, v0
	v_lshrrev_b32_e32 v2, 16, v1
	v_mad_u64_u32 v[4:5], s[2:3], s2, 6, v[2:3]
	v_mov_b32_e32 v6, 0
	v_mov_b32_e32 v5, v6
	s_waitcnt lgkmcnt(0)
	v_cmp_lt_u64_e64 s[2:3], s[10:11], 2
	v_mov_b64_e32 v[2:3], 0
	s_and_b64 vcc, exec, s[2:3]
	v_mov_b64_e32 v[24:25], v[2:3]
	v_mov_b64_e32 v[26:27], v[4:5]
	s_cbranch_vccnz .LBB0_8
; %bb.1:
	s_load_dwordx2 s[2:3], s[0:1], 0x10
	s_add_u32 s16, s14, 8
	s_addc_u32 s17, s15, 0
	s_add_u32 s18, s12, 8
	s_addc_u32 s19, s13, 0
	s_waitcnt lgkmcnt(0)
	s_add_u32 s20, s2, 8
	v_mov_b64_e32 v[2:3], 0
	s_addc_u32 s21, s3, 0
	s_mov_b64 s[22:23], 1
	v_mov_b64_e32 v[24:25], v[2:3]
	v_mov_b64_e32 v[8:9], v[4:5]
.LBB0_2:                                ; =>This Inner Loop Header: Depth=1
	s_load_dwordx2 s[24:25], s[20:21], 0x0
                                        ; implicit-def: $vgpr26_vgpr27
	s_waitcnt lgkmcnt(0)
	v_or_b32_e32 v7, s25, v9
	v_cmp_ne_u64_e32 vcc, 0, v[6:7]
	s_and_saveexec_b64 s[2:3], vcc
	s_xor_b64 s[26:27], exec, s[2:3]
	s_cbranch_execz .LBB0_4
; %bb.3:                                ;   in Loop: Header=BB0_2 Depth=1
	v_cvt_f32_u32_e32 v1, s24
	v_cvt_f32_u32_e32 v5, s25
	s_sub_u32 s2, 0, s24
	s_subb_u32 s3, 0, s25
	v_fmac_f32_e32 v1, 0x4f800000, v5
	v_rcp_f32_e32 v1, v1
	s_nop 0
	v_mul_f32_e32 v1, 0x5f7ffffc, v1
	v_mul_f32_e32 v5, 0x2f800000, v1
	v_trunc_f32_e32 v5, v5
	v_fmac_f32_e32 v1, 0xcf800000, v5
	v_cvt_u32_f32_e32 v5, v5
	v_cvt_u32_f32_e32 v1, v1
	v_mul_lo_u32 v7, s2, v5
	v_mul_hi_u32 v10, s2, v1
	v_mul_lo_u32 v11, s3, v1
	v_add_u32_e32 v7, v10, v7
	v_mul_lo_u32 v14, s2, v1
	v_add_u32_e32 v7, v7, v11
	v_mul_hi_u32 v10, v1, v14
	v_mul_hi_u32 v13, v1, v7
	v_mul_lo_u32 v12, v1, v7
	v_mov_b32_e32 v11, v6
	v_lshl_add_u64 v[10:11], v[10:11], 0, v[12:13]
	v_mul_hi_u32 v13, v5, v14
	v_mul_lo_u32 v14, v5, v14
	v_add_co_u32_e32 v10, vcc, v10, v14
	v_mul_hi_u32 v12, v5, v7
	s_nop 0
	v_addc_co_u32_e32 v10, vcc, v11, v13, vcc
	v_mov_b32_e32 v11, v6
	s_nop 0
	v_addc_co_u32_e32 v13, vcc, 0, v12, vcc
	v_mul_lo_u32 v12, v5, v7
	v_lshl_add_u64 v[10:11], v[10:11], 0, v[12:13]
	v_add_co_u32_e32 v1, vcc, v1, v10
	v_mul_hi_u32 v10, s2, v1
	s_nop 0
	v_addc_co_u32_e32 v5, vcc, v5, v11, vcc
	v_mul_lo_u32 v7, s2, v5
	v_add_u32_e32 v7, v10, v7
	v_mul_lo_u32 v10, s3, v1
	v_add_u32_e32 v7, v7, v10
	v_mul_lo_u32 v12, s2, v1
	v_mul_hi_u32 v15, v5, v12
	v_mul_lo_u32 v16, v5, v12
	v_mul_hi_u32 v11, v1, v7
	;; [unrolled: 2-line block ×3, first 2 shown]
	v_mov_b32_e32 v13, v6
	v_lshl_add_u64 v[10:11], v[12:13], 0, v[10:11]
	v_add_co_u32_e32 v10, vcc, v10, v16
	v_mul_hi_u32 v14, v5, v7
	s_nop 0
	v_addc_co_u32_e32 v10, vcc, v11, v15, vcc
	v_mul_lo_u32 v12, v5, v7
	s_nop 0
	v_addc_co_u32_e32 v13, vcc, 0, v14, vcc
	v_mov_b32_e32 v11, v6
	v_lshl_add_u64 v[10:11], v[10:11], 0, v[12:13]
	v_add_co_u32_e32 v1, vcc, v1, v10
	v_mul_hi_u32 v12, v8, v1
	s_nop 0
	v_addc_co_u32_e32 v5, vcc, v5, v11, vcc
	v_mad_u64_u32 v[10:11], s[2:3], v8, v5, 0
	v_mov_b32_e32 v13, v6
	v_lshl_add_u64 v[10:11], v[12:13], 0, v[10:11]
	v_mad_u64_u32 v[14:15], s[2:3], v9, v1, 0
	v_add_co_u32_e32 v1, vcc, v10, v14
	v_mad_u64_u32 v[12:13], s[2:3], v9, v5, 0
	s_nop 0
	v_addc_co_u32_e32 v10, vcc, v11, v15, vcc
	v_mov_b32_e32 v11, v6
	s_nop 0
	v_addc_co_u32_e32 v13, vcc, 0, v13, vcc
	v_lshl_add_u64 v[10:11], v[10:11], 0, v[12:13]
	v_mul_lo_u32 v1, s25, v10
	v_mul_lo_u32 v5, s24, v11
	v_mad_u64_u32 v[12:13], s[2:3], s24, v10, 0
	v_add3_u32 v1, v13, v5, v1
	v_sub_u32_e32 v5, v9, v1
	v_mov_b32_e32 v7, s25
	v_sub_co_u32_e32 v16, vcc, v8, v12
	v_lshl_add_u64 v[14:15], v[10:11], 0, 1
	s_nop 0
	v_subb_co_u32_e64 v5, s[2:3], v5, v7, vcc
	v_subrev_co_u32_e64 v7, s[2:3], s24, v16
	v_subb_co_u32_e32 v1, vcc, v9, v1, vcc
	s_nop 0
	v_subbrev_co_u32_e64 v5, s[2:3], 0, v5, s[2:3]
	v_cmp_le_u32_e64 s[2:3], s25, v5
	v_cmp_le_u32_e32 vcc, s25, v1
	s_nop 0
	v_cndmask_b32_e64 v12, 0, -1, s[2:3]
	v_cmp_le_u32_e64 s[2:3], s24, v7
	s_nop 1
	v_cndmask_b32_e64 v7, 0, -1, s[2:3]
	v_cmp_eq_u32_e64 s[2:3], s25, v5
	s_nop 1
	v_cndmask_b32_e64 v5, v12, v7, s[2:3]
	v_lshl_add_u64 v[12:13], v[10:11], 0, 2
	v_cmp_ne_u32_e64 s[2:3], 0, v5
	v_cndmask_b32_e64 v7, 0, -1, vcc
	v_cmp_le_u32_e32 vcc, s24, v16
	v_cndmask_b32_e64 v5, v15, v13, s[2:3]
	s_nop 0
	v_cndmask_b32_e64 v13, 0, -1, vcc
	v_cmp_eq_u32_e32 vcc, s25, v1
	s_nop 1
	v_cndmask_b32_e32 v1, v7, v13, vcc
	v_cmp_ne_u32_e32 vcc, 0, v1
	v_cndmask_b32_e64 v1, v14, v12, s[2:3]
	s_nop 0
	v_cndmask_b32_e32 v27, v11, v5, vcc
	v_cndmask_b32_e32 v26, v10, v1, vcc
.LBB0_4:                                ;   in Loop: Header=BB0_2 Depth=1
	s_andn2_saveexec_b64 s[2:3], s[26:27]
	s_cbranch_execz .LBB0_6
; %bb.5:                                ;   in Loop: Header=BB0_2 Depth=1
	v_cvt_f32_u32_e32 v1, s24
	s_sub_i32 s26, 0, s24
	v_mov_b32_e32 v27, v6
	v_rcp_iflag_f32_e32 v1, v1
	s_nop 0
	v_mul_f32_e32 v1, 0x4f7ffffe, v1
	v_cvt_u32_f32_e32 v1, v1
	v_mul_lo_u32 v5, s26, v1
	v_mul_hi_u32 v5, v1, v5
	v_add_u32_e32 v1, v1, v5
	v_mul_hi_u32 v1, v8, v1
	v_mul_lo_u32 v5, v1, s24
	v_sub_u32_e32 v5, v8, v5
	v_add_u32_e32 v7, 1, v1
	v_subrev_u32_e32 v10, s24, v5
	v_cmp_le_u32_e32 vcc, s24, v5
	s_nop 1
	v_cndmask_b32_e32 v5, v5, v10, vcc
	v_cndmask_b32_e32 v1, v1, v7, vcc
	v_add_u32_e32 v7, 1, v1
	v_cmp_le_u32_e32 vcc, s24, v5
	s_nop 1
	v_cndmask_b32_e32 v26, v1, v7, vcc
.LBB0_6:                                ;   in Loop: Header=BB0_2 Depth=1
	s_or_b64 exec, exec, s[2:3]
	v_mad_u64_u32 v[10:11], s[2:3], v26, s24, 0
	s_load_dwordx2 s[2:3], s[18:19], 0x0
	s_add_u32 s22, s22, 1
	v_mul_lo_u32 v1, v27, s24
	v_mul_lo_u32 v5, v26, s25
	s_load_dwordx2 s[24:25], s[16:17], 0x0
	s_addc_u32 s23, s23, 0
	v_add3_u32 v1, v11, v5, v1
	v_sub_co_u32_e32 v5, vcc, v8, v10
	s_add_u32 s16, s16, 8
	s_nop 0
	v_subb_co_u32_e32 v1, vcc, v9, v1, vcc
	s_addc_u32 s17, s17, 0
	s_waitcnt lgkmcnt(0)
	v_mul_lo_u32 v7, s2, v1
	v_mul_lo_u32 v8, s3, v5
	v_mad_u64_u32 v[2:3], s[2:3], s2, v5, v[2:3]
	s_add_u32 s18, s18, 8
	v_add3_u32 v3, v8, v3, v7
	s_addc_u32 s19, s19, 0
	v_mov_b64_e32 v[8:9], s[10:11]
	v_mul_lo_u32 v1, s24, v1
	v_mul_lo_u32 v7, s25, v5
	v_mad_u64_u32 v[24:25], s[2:3], s24, v5, v[24:25]
	s_add_u32 s20, s20, 8
	v_cmp_ge_u64_e32 vcc, s[22:23], v[8:9]
	v_add3_u32 v25, v7, v25, v1
	s_addc_u32 s21, s21, 0
	s_cbranch_vccnz .LBB0_8
; %bb.7:                                ;   in Loop: Header=BB0_2 Depth=1
	v_mov_b64_e32 v[8:9], v[26:27]
	s_branch .LBB0_2
.LBB0_8:
	s_load_dwordx2 s[0:1], s[0:1], 0x28
	s_lshl_b64 s[10:11], s[10:11], 3
	s_add_u32 s2, s14, s10
	s_mov_b32 s14, 0xaaaaaaab
	v_mul_hi_u32 v1, v4, s14
	v_lshrrev_b32_e32 v1, 2, v1
	v_mul_lo_u32 v1, v1, 6
	s_addc_u32 s3, s15, s11
	v_sub_u32_e32 v1, v4, v1
	s_waitcnt lgkmcnt(0)
	v_cmp_gt_u64_e32 vcc, s[0:1], v[26:27]
	v_cmp_le_u64_e64 s[0:1], s[0:1], v[26:27]
                                        ; implicit-def: $vgpr28
                                        ; implicit-def: $vgpr30
	s_and_saveexec_b64 s[14:15], s[0:1]
	s_xor_b64 s[0:1], exec, s[14:15]
; %bb.9:
	s_mov_b32 s14, 0x1999999a
	v_mul_hi_u32 v2, v0, s14
	v_mul_u32_u24_e32 v2, 10, v2
	v_sub_u32_e32 v28, v0, v2
	v_add_u32_e32 v30, 10, v28
                                        ; implicit-def: $vgpr0
                                        ; implicit-def: $vgpr2_vgpr3
; %bb.10:
	s_or_saveexec_b64 s[0:1], s[0:1]
	v_mul_u32_u24_e32 v1, 0x51, v1
	v_lshlrev_b32_e32 v34, 4, v1
	s_xor_b64 exec, exec, s[0:1]
	s_cbranch_execz .LBB0_12
; %bb.11:
	s_add_u32 s10, s12, s10
	s_addc_u32 s11, s13, s11
	s_load_dwordx2 s[10:11], s[10:11], 0x0
	s_mov_b32 s12, 0x1999999a
	v_mov_b32_e32 v33, 0
	s_waitcnt lgkmcnt(0)
	v_mul_lo_u32 v1, s11, v26
	v_mul_lo_u32 v6, s10, v27
	v_mad_u64_u32 v[4:5], s[10:11], s10, v26, 0
	v_add3_u32 v5, v5, v6, v1
	v_mul_hi_u32 v1, v0, s12
	v_mul_u32_u24_e32 v1, 10, v1
	v_sub_u32_e32 v28, v0, v1
	v_lshl_add_u64 v[0:1], v[4:5], 4, s[4:5]
	v_lshl_add_u64 v[0:1], v[2:3], 4, v[0:1]
	v_lshlrev_b32_e32 v32, 4, v28
	v_lshl_add_u64 v[30:31], v[0:1], 0, v[32:33]
	global_load_dwordx4 v[0:3], v[30:31], off
	global_load_dwordx4 v[4:7], v[30:31], off offset:160
	global_load_dwordx4 v[8:11], v[30:31], off offset:320
	;; [unrolled: 1-line block ×7, first 2 shown]
	v_add_u32_e32 v30, 10, v28
	v_add3_u32 v29, 0, v34, v32
	s_waitcnt vmcnt(7)
	ds_write_b128 v29, v[0:3]
	s_waitcnt vmcnt(6)
	ds_write_b128 v29, v[4:7] offset:160
	s_waitcnt vmcnt(5)
	ds_write_b128 v29, v[8:11] offset:320
	;; [unrolled: 2-line block ×7, first 2 shown]
.LBB0_12:
	s_or_b64 exec, exec, s[0:1]
	v_add_u32_e32 v32, 0, v34
	v_lshlrev_b32_e32 v29, 4, v28
	v_add_u32_e32 v33, v32, v29
	s_load_dwordx2 s[2:3], s[2:3], 0x0
	s_waitcnt lgkmcnt(0)
	; wave barrier
	s_waitcnt lgkmcnt(0)
	v_add3_u32 v31, 0, v29, v34
	ds_read_b128 v[8:11], v33
	ds_read_b128 v[0:3], v31 offset:160
	ds_read_b128 v[36:39], v31 offset:256
	;; [unrolled: 1-line block ×6, first 2 shown]
	s_waitcnt lgkmcnt(4)
	v_add_f64 v[16:17], v[8:9], v[36:37]
	s_waitcnt lgkmcnt(3)
	v_add_f64 v[20:21], v[16:17], v[40:41]
	;; [unrolled: 2-line block ×3, first 2 shown]
	v_add_f64 v[60:61], v[36:37], -v[40:41]
	v_add_f64 v[54:55], v[10:11], v[38:39]
	v_add_f64 v[62:63], v[40:41], -v[36:37]
	s_waitcnt lgkmcnt(1)
	v_add_f64 v[72:73], v[36:37], v[48:49]
	v_add_f64 v[74:75], v[36:37], -v[48:49]
	v_add_f64 v[36:37], v[48:49], -v[44:45]
	s_mov_b32 s10, 0x134454ff
	v_add_f64 v[52:53], v[20:21], v[44:45]
	v_add_f64 v[58:59], v[42:43], -v[46:47]
	v_add_f64 v[54:55], v[54:55], v[42:43]
	v_add_f64 v[64:65], v[42:43], v[46:47]
	v_add_f64 v[66:67], v[40:41], -v[44:45]
	v_add_f64 v[68:69], v[38:39], -v[42:43]
	;; [unrolled: 1-line block ×4, first 2 shown]
	v_add_f64 v[76:77], v[38:39], v[50:51]
	v_add_f64 v[38:39], v[44:45], -v[48:49]
	v_add_f64 v[44:45], v[60:61], v[36:37]
	s_mov_b32 s11, 0xbfee6f0e
	s_mov_b32 s4, 0x4755a5e
	v_fma_f64 v[36:37], -0.5, v[56:57], v[8:9]
	s_mov_b32 s15, 0x3fee6f0e
	s_mov_b32 s14, s10
	;; [unrolled: 1-line block ×3, first 2 shown]
	v_fma_f64 v[40:41], s[10:11], v[42:43], v[36:37]
	s_mov_b32 s12, 0x372fe950
	v_fmac_f64_e32 v[36:37], s[14:15], v[42:43]
	s_mov_b32 s17, 0x3fe2cf23
	s_mov_b32 s16, s4
	v_fmac_f64_e32 v[40:41], s[4:5], v[58:59]
	s_mov_b32 s13, 0x3fd3c6ef
	v_fmac_f64_e32 v[36:37], s[16:17], v[58:59]
	v_fmac_f64_e32 v[8:9], -0.5, v[72:73]
	v_fmac_f64_e32 v[40:41], s[12:13], v[44:45]
	v_fmac_f64_e32 v[36:37], s[12:13], v[44:45]
	v_fma_f64 v[44:45], s[14:15], v[58:59], v[8:9]
	v_fmac_f64_e32 v[8:9], s[10:11], v[58:59]
	v_add_f64 v[38:39], v[62:63], v[38:39]
	v_fmac_f64_e32 v[44:45], s[4:5], v[42:43]
	v_fmac_f64_e32 v[8:9], s[16:17], v[42:43]
	ds_read_b128 v[12:15], v31 offset:672
	ds_read_b128 v[16:19], v31 offset:928
	;; [unrolled: 1-line block ×3, first 2 shown]
	v_fmac_f64_e32 v[44:45], s[12:13], v[38:39]
	v_fmac_f64_e32 v[8:9], s[12:13], v[38:39]
	v_fma_f64 v[38:39], -0.5, v[64:65], v[10:11]
	v_add_f64 v[52:53], v[52:53], v[48:49]
	v_add_f64 v[54:55], v[54:55], v[46:47]
	v_add_f64 v[48:49], v[50:51], -v[46:47]
	v_fma_f64 v[42:43], s[14:15], v[74:75], v[38:39]
	v_fmac_f64_e32 v[38:39], s[10:11], v[74:75]
	v_add_f64 v[54:55], v[54:55], v[50:51]
	v_add_f64 v[50:51], v[46:47], -v[50:51]
	v_add_f64 v[46:47], v[68:69], v[48:49]
	v_fmac_f64_e32 v[42:43], s[16:17], v[66:67]
	v_fmac_f64_e32 v[38:39], s[4:5], v[66:67]
	v_fmac_f64_e32 v[10:11], -0.5, v[76:77]
	v_fmac_f64_e32 v[42:43], s[12:13], v[46:47]
	v_fmac_f64_e32 v[38:39], s[12:13], v[46:47]
	v_fma_f64 v[46:47], s[10:11], v[66:67], v[10:11]
	v_fmac_f64_e32 v[10:11], s[14:15], v[66:67]
	v_fmac_f64_e32 v[46:47], s[16:17], v[74:75]
	v_add_f64 v[48:49], v[70:71], v[50:51]
	v_fmac_f64_e32 v[10:11], s[4:5], v[74:75]
	v_lshl_add_u32 v35, v28, 6, v31
	v_cmp_gt_u32_e64 s[0:1], 6, v28
	v_fmac_f64_e32 v[46:47], s[12:13], v[48:49]
	v_fmac_f64_e32 v[10:11], s[12:13], v[48:49]
	s_waitcnt lgkmcnt(0)
	; wave barrier
	s_waitcnt lgkmcnt(0)
	ds_write_b128 v35, v[52:55]
	ds_write_b128 v35, v[40:43] offset:16
	ds_write_b128 v35, v[44:47] offset:32
	;; [unrolled: 1-line block ×4, first 2 shown]
	s_and_saveexec_b64 s[18:19], s[0:1]
	s_cbranch_execz .LBB0_14
; %bb.13:
	v_add_f64 v[8:9], v[14:15], -v[6:7]
	v_add_f64 v[10:11], v[18:19], -v[22:23]
	v_add_f64 v[10:11], v[8:9], v[10:11]
	v_add_f64 v[8:9], v[6:7], v[22:23]
	v_add_f64 v[36:37], v[12:13], -v[16:17]
	v_fma_f64 v[8:9], -0.5, v[8:9], v[2:3]
	v_fma_f64 v[38:39], s[14:15], v[36:37], v[8:9]
	v_add_f64 v[40:41], v[4:5], -v[20:21]
	v_fmac_f64_e32 v[8:9], s[10:11], v[36:37]
	v_fmac_f64_e32 v[38:39], s[4:5], v[40:41]
	;; [unrolled: 1-line block ×5, first 2 shown]
	v_add_f64 v[10:11], v[6:7], -v[14:15]
	v_add_f64 v[42:43], v[22:23], -v[18:19]
	v_add_f64 v[10:11], v[10:11], v[42:43]
	v_add_f64 v[42:43], v[14:15], v[18:19]
	v_fma_f64 v[42:43], -0.5, v[42:43], v[2:3]
	v_add_f64 v[2:3], v[2:3], v[6:7]
	v_add_f64 v[2:3], v[2:3], v[14:15]
	v_fma_f64 v[46:47], s[10:11], v[40:41], v[42:43]
	v_fmac_f64_e32 v[42:43], s[14:15], v[40:41]
	v_add_f64 v[2:3], v[2:3], v[18:19]
	v_fmac_f64_e32 v[46:47], s[4:5], v[36:37]
	v_fmac_f64_e32 v[42:43], s[16:17], v[36:37]
	v_add_f64 v[2:3], v[2:3], v[22:23]
	v_add_f64 v[22:23], v[6:7], -v[22:23]
	v_add_f64 v[6:7], v[4:5], v[20:21]
	v_fmac_f64_e32 v[46:47], s[12:13], v[10:11]
	v_fmac_f64_e32 v[42:43], s[12:13], v[10:11]
	v_add_f64 v[10:11], v[12:13], -v[4:5]
	v_add_f64 v[36:37], v[16:17], -v[20:21]
	v_fma_f64 v[6:7], -0.5, v[6:7], v[0:1]
	v_add_f64 v[14:15], v[14:15], -v[18:19]
	v_add_f64 v[10:11], v[10:11], v[36:37]
	v_fma_f64 v[36:37], s[10:11], v[14:15], v[6:7]
	v_fmac_f64_e32 v[6:7], s[14:15], v[14:15]
	v_fmac_f64_e32 v[36:37], s[16:17], v[22:23]
	;; [unrolled: 1-line block ×5, first 2 shown]
	v_add_f64 v[10:11], v[4:5], -v[12:13]
	v_add_f64 v[18:19], v[20:21], -v[16:17]
	v_add_f64 v[10:11], v[10:11], v[18:19]
	v_add_f64 v[18:19], v[12:13], v[16:17]
	v_fma_f64 v[40:41], -0.5, v[18:19], v[0:1]
	v_add_f64 v[0:1], v[0:1], v[4:5]
	v_add_f64 v[0:1], v[0:1], v[12:13]
	v_fma_f64 v[44:45], s[14:15], v[22:23], v[40:41]
	v_fmac_f64_e32 v[40:41], s[10:11], v[22:23]
	v_add_f64 v[0:1], v[0:1], v[16:17]
	v_mul_i32_i24_e32 v4, 0x50, v30
	v_fmac_f64_e32 v[44:45], s[16:17], v[14:15]
	v_fmac_f64_e32 v[40:41], s[4:5], v[14:15]
	v_add_f64 v[0:1], v[0:1], v[20:21]
	v_add3_u32 v4, 0, v4, v34
	v_fmac_f64_e32 v[44:45], s[12:13], v[10:11]
	v_fmac_f64_e32 v[40:41], s[12:13], v[10:11]
	ds_write_b128 v4, v[0:3]
	ds_write_b128 v4, v[40:43] offset:16
	ds_write_b128 v4, v[6:9] offset:32
	;; [unrolled: 1-line block ×4, first 2 shown]
.LBB0_14:
	s_or_b64 exec, exec, s[18:19]
	v_add_u32_e32 v0, -5, v28
	v_cmp_gt_u32_e64 s[0:1], 5, v28
	v_mov_b32_e32 v3, 0
	v_mov_b32_e32 v16, 4
	v_cndmask_b32_e64 v2, v0, v28, s[0:1]
	s_movk_i32 s0, 0xcd
	v_mul_lo_u16_sdwa v4, v30, s0 dst_sel:DWORD dst_unused:UNUSED_PAD src0_sel:BYTE_0 src1_sel:DWORD
	v_lshrrev_b16_e32 v35, 10, v4
	v_mul_lo_u16_e32 v4, 5, v35
	v_lshl_add_u64 v[0:1], v[2:3], 4, s[8:9]
	v_sub_u16_e32 v4, v30, v4
	s_waitcnt lgkmcnt(0)
	; wave barrier
	s_waitcnt lgkmcnt(0)
	v_lshlrev_b32_sdwa v64, v16, v4 dst_sel:DWORD dst_unused:UNUSED_PAD src0_sel:DWORD src1_sel:BYTE_0
	global_load_dwordx4 v[4:7], v[0:1], off
	global_load_dwordx4 v[8:11], v64, s[8:9]
	v_add_u16_e32 v0, 20, v28
	v_add_u16_e32 v1, 30, v28
	v_mul_lo_u16_sdwa v12, v0, s0 dst_sel:DWORD dst_unused:UNUSED_PAD src0_sel:BYTE_0 src1_sel:DWORD
	v_mul_lo_u16_sdwa v13, v1, s0 dst_sel:DWORD dst_unused:UNUSED_PAD src0_sel:BYTE_0 src1_sel:DWORD
	v_lshrrev_b16_e32 v65, 10, v12
	v_lshrrev_b16_e32 v66, 10, v13
	v_mul_lo_u16_e32 v12, 5, v65
	v_mul_lo_u16_e32 v17, 5, v66
	v_sub_u16_e32 v0, v0, v12
	v_sub_u16_e32 v1, v1, v17
	v_lshlrev_b32_sdwa v0, v16, v0 dst_sel:DWORD dst_unused:UNUSED_PAD src0_sel:DWORD src1_sel:BYTE_0
	v_lshlrev_b32_sdwa v67, v16, v1 dst_sel:DWORD dst_unused:UNUSED_PAD src0_sel:DWORD src1_sel:BYTE_0
	global_load_dwordx4 v[12:15], v0, s[8:9]
	global_load_dwordx4 v[16:19], v67, s[8:9]
	v_lshlrev_b32_e32 v1, 4, v30
	ds_read_b128 v[20:23], v33
	ds_read_b128 v[36:39], v31 offset:320
	ds_read_b128 v[40:43], v31 offset:800
	;; [unrolled: 1-line block ×5, first 2 shown]
	v_mov_b32_e32 v56, 0xa0
	v_cmp_lt_u32_e64 s[0:1], 4, v28
	v_add3_u32 v68, 0, v1, v34
	s_movk_i32 s4, 0xa0
	v_cndmask_b32_e64 v1, 0, v56, s[0:1]
	v_add_u32_e32 v1, 0, v1
	v_lshlrev_b32_e32 v2, 4, v2
	ds_read_b128 v[56:59], v31 offset:1120
	ds_read_b128 v[60:63], v68
	v_add3_u32 v2, v1, v2, v34
	v_mad_u32_u24 v1, v35, s4, 0
	v_mad_u32_u24 v35, v65, s4, 0
	v_add3_u32 v64, v1, v64, v34
	v_add3_u32 v35, v35, v0, v34
	s_waitcnt lgkmcnt(0)
	; wave barrier
	s_waitcnt lgkmcnt(0)
	s_mov_b32 s0, 0x667f3bcd
	s_mov_b32 s1, 0xbfe6a09e
	;; [unrolled: 1-line block ×3, first 2 shown]
	s_waitcnt vmcnt(3)
	v_mul_f64 v[0:1], v[50:51], v[6:7]
	v_mul_f64 v[6:7], v[48:49], v[6:7]
	v_fmac_f64_e32 v[0:1], v[48:49], v[4:5]
	v_fma_f64 v[6:7], v[50:51], v[4:5], -v[6:7]
	v_add_f64 v[4:5], v[20:21], -v[0:1]
	v_add_f64 v[6:7], v[22:23], -v[6:7]
	s_waitcnt vmcnt(2)
	v_mul_f64 v[0:1], v[42:43], v[10:11]
	v_mul_f64 v[10:11], v[40:41], v[10:11]
	v_fma_f64 v[20:21], v[20:21], 2.0, -v[4:5]
	ds_write_b128 v2, v[4:7] offset:80
	v_fma_f64 v[22:23], v[22:23], 2.0, -v[6:7]
	v_fmac_f64_e32 v[0:1], v[40:41], v[8:9]
	v_fma_f64 v[6:7], v[42:43], v[8:9], -v[10:11]
	ds_write_b128 v2, v[20:23]
	s_waitcnt vmcnt(1)
	v_mul_f64 v[48:49], v[46:47], v[14:15]
	v_mul_f64 v[14:15], v[44:45], v[14:15]
	s_waitcnt vmcnt(0)
	v_mul_f64 v[50:51], v[58:59], v[18:19]
	v_mul_f64 v[4:5], v[56:57], v[18:19]
	v_fmac_f64_e32 v[48:49], v[44:45], v[12:13]
	v_fma_f64 v[10:11], v[46:47], v[12:13], -v[14:15]
	v_fmac_f64_e32 v[50:51], v[56:57], v[16:17]
	v_fma_f64 v[14:15], v[58:59], v[16:17], -v[4:5]
	v_add_f64 v[4:5], v[60:61], -v[0:1]
	v_add_f64 v[8:9], v[36:37], -v[48:49]
	;; [unrolled: 1-line block ×5, first 2 shown]
	v_mad_u32_u24 v0, v66, s4, 0
	v_add_f64 v[6:7], v[62:63], -v[6:7]
	v_fma_f64 v[20:21], v[36:37], 2.0, -v[8:9]
	v_fma_f64 v[22:23], v[38:39], 2.0, -v[10:11]
	;; [unrolled: 1-line block ×4, first 2 shown]
	v_add3_u32 v0, v0, v67, v34
	v_fma_f64 v[16:17], v[60:61], 2.0, -v[4:5]
	v_fma_f64 v[18:19], v[62:63], 2.0, -v[6:7]
	ds_write_b128 v64, v[4:7] offset:80
	ds_write_b128 v64, v[16:19]
	ds_write_b128 v35, v[20:23]
	ds_write_b128 v35, v[8:11] offset:80
	ds_write_b128 v0, v[36:39]
	ds_write_b128 v0, v[12:15] offset:80
	v_mul_u32_u24_e32 v0, 7, v28
	v_lshlrev_b32_e32 v0, 4, v0
	s_waitcnt lgkmcnt(0)
	; wave barrier
	s_waitcnt lgkmcnt(0)
	global_load_dwordx4 v[4:7], v0, s[8:9] offset:80
	global_load_dwordx4 v[8:11], v0, s[8:9] offset:96
	;; [unrolled: 1-line block ×7, first 2 shown]
	ds_read_b128 v[42:45], v68
	ds_read_b128 v[46:49], v33
	ds_read_b128 v[50:53], v31 offset:320
	ds_read_b128 v[54:57], v31 offset:480
	;; [unrolled: 1-line block ×6, first 2 shown]
	s_mov_b32 s4, s0
	s_waitcnt lgkmcnt(0)
	; wave barrier
	s_waitcnt vmcnt(6) lgkmcnt(0)
	v_mul_f64 v[0:1], v[44:45], v[6:7]
	v_mul_f64 v[6:7], v[42:43], v[6:7]
	s_waitcnt vmcnt(5)
	v_mul_f64 v[74:75], v[52:53], v[10:11]
	v_fmac_f64_e32 v[0:1], v[42:43], v[4:5]
	v_fma_f64 v[4:5], v[44:45], v[4:5], -v[6:7]
	v_mul_f64 v[6:7], v[50:51], v[10:11]
	s_waitcnt vmcnt(4)
	v_mul_f64 v[10:11], v[56:57], v[14:15]
	v_mul_f64 v[14:15], v[54:55], v[14:15]
	s_waitcnt vmcnt(3)
	v_mul_f64 v[42:43], v[60:61], v[18:19]
	v_fmac_f64_e32 v[74:75], v[50:51], v[8:9]
	v_fma_f64 v[6:7], v[52:53], v[8:9], -v[6:7]
	v_mul_f64 v[8:9], v[58:59], v[18:19]
	s_waitcnt vmcnt(2)
	;; [unrolled: 8-line block ×3, first 2 shown]
	v_mul_f64 v[36:37], v[72:73], v[40:41]
	v_mul_f64 v[40:41], v[70:71], v[40:41]
	v_fmac_f64_e32 v[42:43], v[58:59], v[16:17]
	v_fma_f64 v[8:9], v[60:61], v[16:17], -v[8:9]
	v_fmac_f64_e32 v[18:19], v[62:63], v[20:21]
	v_fma_f64 v[16:17], v[64:65], v[20:21], -v[22:23]
	;; [unrolled: 2-line block ×4, first 2 shown]
	v_add_f64 v[22:23], v[46:47], -v[42:43]
	v_add_f64 v[8:9], v[48:49], -v[8:9]
	;; [unrolled: 1-line block ×8, first 2 shown]
	v_fma_f64 v[38:39], v[46:47], 2.0, -v[22:23]
	v_fma_f64 v[40:41], v[48:49], 2.0, -v[8:9]
	;; [unrolled: 1-line block ×8, first 2 shown]
	v_add_f64 v[44:45], v[22:23], v[14:15]
	v_add_f64 v[46:47], v[8:9], -v[34:35]
	v_add_f64 v[48:49], v[18:19], v[20:21]
	v_add_f64 v[50:51], v[16:17], -v[36:37]
	v_add_f64 v[34:35], v[38:39], -v[42:43]
	;; [unrolled: 1-line block ×3, first 2 shown]
	v_fma_f64 v[20:21], v[22:23], 2.0, -v[44:45]
	v_fma_f64 v[22:23], v[8:9], 2.0, -v[46:47]
	v_add_f64 v[42:43], v[0:1], -v[10:11]
	v_add_f64 v[52:53], v[4:5], -v[12:13]
	v_fma_f64 v[18:19], v[18:19], 2.0, -v[48:49]
	v_fma_f64 v[16:17], v[16:17], 2.0, -v[50:51]
	;; [unrolled: 1-line block ×6, first 2 shown]
	v_fma_f64 v[12:13], s[0:1], v[18:19], v[20:21]
	v_fma_f64 v[14:15], s[0:1], v[16:17], v[22:23]
	v_add_f64 v[4:5], v[8:9], -v[0:1]
	v_add_f64 v[6:7], v[10:11], -v[6:7]
	v_fmac_f64_e32 v[12:13], s[4:5], v[16:17]
	v_fmac_f64_e32 v[14:15], s[0:1], v[18:19]
	v_fma_f64 v[38:39], s[4:5], v[48:49], v[44:45]
	v_fma_f64 v[40:41], s[4:5], v[50:51], v[46:47]
	v_fma_f64 v[8:9], v[8:9], 2.0, -v[4:5]
	v_fma_f64 v[10:11], v[10:11], 2.0, -v[6:7]
	;; [unrolled: 1-line block ×4, first 2 shown]
	v_add_f64 v[20:21], v[34:35], v[52:53]
	v_add_f64 v[22:23], v[36:37], -v[42:43]
	v_fmac_f64_e32 v[38:39], s[4:5], v[50:51]
	v_fmac_f64_e32 v[40:41], s[0:1], v[48:49]
	v_fma_f64 v[34:35], v[34:35], 2.0, -v[20:21]
	v_fma_f64 v[36:37], v[36:37], 2.0, -v[22:23]
	;; [unrolled: 1-line block ×4, first 2 shown]
	ds_write_b128 v31, v[8:11]
	ds_write_b128 v31, v[16:19] offset:160
	ds_write_b128 v31, v[34:37] offset:320
	;; [unrolled: 1-line block ×7, first 2 shown]
	s_waitcnt lgkmcnt(0)
	; wave barrier
	s_waitcnt lgkmcnt(0)
	ds_read_b128 v[4:7], v33
	v_sub_u32_e32 v14, v32, v29
	v_cmp_ne_u32_e64 s[0:1], 0, v28
                                        ; implicit-def: $vgpr0_vgpr1
                                        ; implicit-def: $vgpr8_vgpr9
                                        ; implicit-def: $vgpr10_vgpr11
                                        ; implicit-def: $vgpr12_vgpr13
	s_and_saveexec_b64 s[4:5], s[0:1]
	s_xor_b64 s[0:1], exec, s[4:5]
	s_cbranch_execz .LBB0_16
; %bb.15:
	v_mov_b32_e32 v29, v3
	v_lshl_add_u64 v[0:1], v[28:29], 4, s[8:9]
	global_load_dwordx4 v[0:3], v[0:1], off offset:1200
	ds_read_b128 v[8:11], v14 offset:1280
	s_waitcnt lgkmcnt(0)
	v_add_f64 v[12:13], v[4:5], v[8:9]
	v_add_f64 v[4:5], v[4:5], -v[8:9]
	v_add_f64 v[16:17], v[6:7], v[10:11]
	v_add_f64 v[6:7], v[6:7], -v[10:11]
	v_mul_f64 v[4:5], v[4:5], 0.5
	v_mul_f64 v[16:17], v[16:17], 0.5
	;; [unrolled: 1-line block ×3, first 2 shown]
	s_waitcnt vmcnt(0)
	v_mul_f64 v[18:19], v[4:5], v[2:3]
	v_fma_f64 v[10:11], v[16:17], v[2:3], v[6:7]
	v_fma_f64 v[2:3], v[16:17], v[2:3], -v[6:7]
	v_fma_f64 v[8:9], 0.5, v[12:13], v[18:19]
	v_fma_f64 v[6:7], v[12:13], 0.5, -v[18:19]
	v_fma_f64 v[10:11], -v[0:1], v[4:5], v[10:11]
	v_fma_f64 v[2:3], -v[0:1], v[4:5], v[2:3]
	v_fmac_f64_e32 v[8:9], v[16:17], v[0:1]
	v_fma_f64 v[0:1], -v[16:17], v[0:1], v[6:7]
	v_mov_b64_e32 v[12:13], v[28:29]
                                        ; implicit-def: $vgpr4_vgpr5
.LBB0_16:
	s_andn2_saveexec_b64 s[0:1], s[0:1]
	s_cbranch_execz .LBB0_18
; %bb.17:
	ds_read_b64 v[2:3], v32 offset:648
	v_mov_b64_e32 v[10:11], 0
	s_waitcnt lgkmcnt(1)
	v_add_f64 v[8:9], v[4:5], v[6:7]
	v_add_f64 v[0:1], v[4:5], -v[6:7]
	v_mov_b64_e32 v[12:13], 0
	s_waitcnt lgkmcnt(0)
	v_xor_b32_e32 v3, 0x80000000, v3
	ds_write_b64 v32, v[2:3] offset:648
	v_mov_b64_e32 v[2:3], v[10:11]
.LBB0_18:
	s_or_b64 exec, exec, s[0:1]
	v_mov_b32_e32 v31, 0
	s_waitcnt lgkmcnt(0)
	v_lshl_add_u64 v[4:5], v[30:31], 4, s[8:9]
	global_load_dwordx4 v[4:7], v[4:5], off offset:1200
	s_add_u32 s0, s8, 0x4b0
	s_addc_u32 s1, s9, 0
	v_lshl_add_u64 v[12:13], v[12:13], 4, s[0:1]
	global_load_dwordx4 v[16:19], v[12:13], off offset:320
	global_load_dwordx4 v[20:23], v[12:13], off offset:480
	ds_write2_b64 v33, v[8:9], v[10:11] offset1:1
	ds_write_b128 v14, v[0:3] offset:1280
	v_lshl_add_u32 v15, v30, 4, v32
	ds_read_b128 v[0:3], v15
	ds_read_b128 v[8:11], v14 offset:1120
	s_waitcnt lgkmcnt(0)
	v_add_f64 v[12:13], v[0:1], v[8:9]
	v_add_f64 v[0:1], v[0:1], -v[8:9]
	v_add_f64 v[34:35], v[2:3], v[10:11]
	v_add_f64 v[2:3], v[2:3], -v[10:11]
	v_mul_f64 v[0:1], v[0:1], 0.5
	v_mul_f64 v[8:9], v[34:35], 0.5
	;; [unrolled: 1-line block ×3, first 2 shown]
	s_waitcnt vmcnt(2)
	v_mul_f64 v[10:11], v[0:1], v[6:7]
	v_fma_f64 v[34:35], v[8:9], v[6:7], v[2:3]
	v_fma_f64 v[2:3], v[8:9], v[6:7], -v[2:3]
	v_fma_f64 v[6:7], 0.5, v[12:13], v[10:11]
	v_fma_f64 v[34:35], -v[4:5], v[0:1], v[34:35]
	v_fma_f64 v[10:11], v[12:13], 0.5, -v[10:11]
	v_fmac_f64_e32 v[6:7], v[8:9], v[4:5]
	v_fma_f64 v[2:3], -v[4:5], v[0:1], v[2:3]
	v_fma_f64 v[0:1], -v[8:9], v[4:5], v[10:11]
	ds_write2_b64 v15, v[6:7], v[34:35] offset1:1
	ds_write_b128 v14, v[0:3] offset:1120
	ds_read_b128 v[0:3], v33 offset:320
	ds_read_b128 v[4:7], v14 offset:960
	s_waitcnt lgkmcnt(0)
	v_add_f64 v[8:9], v[0:1], v[4:5]
	v_add_f64 v[0:1], v[0:1], -v[4:5]
	v_add_f64 v[10:11], v[2:3], v[6:7]
	v_add_f64 v[2:3], v[2:3], -v[6:7]
	v_mul_f64 v[0:1], v[0:1], 0.5
	v_mul_f64 v[4:5], v[10:11], 0.5
	;; [unrolled: 1-line block ×3, first 2 shown]
	s_waitcnt vmcnt(1)
	v_mul_f64 v[6:7], v[0:1], v[18:19]
	v_fma_f64 v[10:11], v[4:5], v[18:19], v[2:3]
	v_fma_f64 v[12:13], 0.5, v[8:9], v[6:7]
	v_fma_f64 v[2:3], v[4:5], v[18:19], -v[2:3]
	v_fma_f64 v[10:11], -v[16:17], v[0:1], v[10:11]
	v_fma_f64 v[6:7], v[8:9], 0.5, -v[6:7]
	v_fmac_f64_e32 v[12:13], v[4:5], v[16:17]
	v_fma_f64 v[2:3], -v[16:17], v[0:1], v[2:3]
	v_fma_f64 v[0:1], -v[4:5], v[16:17], v[6:7]
	ds_write2_b64 v33, v[12:13], v[10:11] offset0:40 offset1:41
	ds_write_b128 v14, v[0:3] offset:960
	ds_read_b128 v[0:3], v33 offset:480
	ds_read_b128 v[4:7], v14 offset:800
	s_waitcnt lgkmcnt(0)
	v_add_f64 v[8:9], v[0:1], v[4:5]
	v_add_f64 v[0:1], v[0:1], -v[4:5]
	v_add_f64 v[10:11], v[2:3], v[6:7]
	v_add_f64 v[2:3], v[2:3], -v[6:7]
	v_mul_f64 v[0:1], v[0:1], 0.5
	v_mul_f64 v[4:5], v[10:11], 0.5
	;; [unrolled: 1-line block ×3, first 2 shown]
	s_waitcnt vmcnt(0)
	v_mul_f64 v[6:7], v[0:1], v[22:23]
	v_fma_f64 v[10:11], v[4:5], v[22:23], v[2:3]
	v_fma_f64 v[12:13], 0.5, v[8:9], v[6:7]
	v_fma_f64 v[2:3], v[4:5], v[22:23], -v[2:3]
	v_fma_f64 v[10:11], -v[20:21], v[0:1], v[10:11]
	v_fma_f64 v[6:7], v[8:9], 0.5, -v[6:7]
	v_fmac_f64_e32 v[12:13], v[4:5], v[20:21]
	v_fma_f64 v[2:3], -v[20:21], v[0:1], v[2:3]
	v_fma_f64 v[0:1], -v[4:5], v[20:21], v[6:7]
	ds_write2_b64 v33, v[12:13], v[10:11] offset0:60 offset1:61
	ds_write_b128 v14, v[0:3] offset:800
	s_waitcnt lgkmcnt(0)
	; wave barrier
	s_waitcnt lgkmcnt(0)
	s_and_saveexec_b64 s[0:1], vcc
	s_cbranch_execz .LBB0_21
; %bb.19:
	v_mul_lo_u32 v2, s3, v26
	v_mul_lo_u32 v3, s2, v27
	v_mad_u64_u32 v[0:1], s[0:1], s2, v26, 0
	v_add3_u32 v1, v1, v3, v2
	v_lshl_add_u32 v2, v28, 4, v32
	ds_read_b128 v[4:7], v2
	ds_read_b128 v[8:11], v2 offset:160
	v_lshl_add_u64 v[0:1], v[0:1], 4, s[6:7]
	v_mov_b32_e32 v29, v31
	v_lshl_add_u64 v[0:1], v[24:25], 4, v[0:1]
	v_lshl_add_u64 v[12:13], v[28:29], 4, v[0:1]
	v_add_u32_e32 v30, 10, v28
	s_waitcnt lgkmcnt(1)
	global_store_dwordx4 v[12:13], v[4:7], off
	v_lshl_add_u64 v[12:13], v[30:31], 4, v[0:1]
	ds_read_b128 v[4:7], v2 offset:320
	s_waitcnt lgkmcnt(1)
	global_store_dwordx4 v[12:13], v[8:11], off
	ds_read_b128 v[8:11], v2 offset:480
	v_add_u32_e32 v30, 20, v28
	v_lshl_add_u64 v[12:13], v[30:31], 4, v[0:1]
	v_add_u32_e32 v30, 30, v28
	s_waitcnt lgkmcnt(1)
	global_store_dwordx4 v[12:13], v[4:7], off
	v_lshl_add_u64 v[12:13], v[30:31], 4, v[0:1]
	ds_read_b128 v[4:7], v2 offset:640
	s_waitcnt lgkmcnt(1)
	global_store_dwordx4 v[12:13], v[8:11], off
	ds_read_b128 v[8:11], v2 offset:800
	v_add_u32_e32 v30, 40, v28
	;; [unrolled: 10-line block ×3, first 2 shown]
	v_lshl_add_u64 v[12:13], v[30:31], 4, v[0:1]
	v_add_u32_e32 v30, 0x46, v28
	s_waitcnt lgkmcnt(1)
	global_store_dwordx4 v[12:13], v[4:7], off
	v_cmp_eq_u32_e32 vcc, 9, v28
	s_nop 0
	v_lshl_add_u64 v[4:5], v[30:31], 4, v[0:1]
	s_waitcnt lgkmcnt(0)
	global_store_dwordx4 v[4:5], v[8:11], off
	s_and_b64 exec, exec, vcc
	s_cbranch_execz .LBB0_21
; %bb.20:
	ds_read_b128 v[2:5], v2 offset:1136
	s_waitcnt lgkmcnt(0)
	global_store_dwordx4 v[0:1], v[2:5], off offset:1280
.LBB0_21:
	s_endpgm
	.section	.rodata,"a",@progbits
	.p2align	6, 0x0
	.amdhsa_kernel fft_rtc_back_len80_factors_5_2_8_wgs_60_tpt_10_halfLds_dp_op_CI_CI_unitstride_sbrr_R2C_dirReg
		.amdhsa_group_segment_fixed_size 0
		.amdhsa_private_segment_fixed_size 0
		.amdhsa_kernarg_size 104
		.amdhsa_user_sgpr_count 2
		.amdhsa_user_sgpr_dispatch_ptr 0
		.amdhsa_user_sgpr_queue_ptr 0
		.amdhsa_user_sgpr_kernarg_segment_ptr 1
		.amdhsa_user_sgpr_dispatch_id 0
		.amdhsa_user_sgpr_kernarg_preload_length 0
		.amdhsa_user_sgpr_kernarg_preload_offset 0
		.amdhsa_user_sgpr_private_segment_size 0
		.amdhsa_uses_dynamic_stack 0
		.amdhsa_enable_private_segment 0
		.amdhsa_system_sgpr_workgroup_id_x 1
		.amdhsa_system_sgpr_workgroup_id_y 0
		.amdhsa_system_sgpr_workgroup_id_z 0
		.amdhsa_system_sgpr_workgroup_info 0
		.amdhsa_system_vgpr_workitem_id 0
		.amdhsa_next_free_vgpr 78
		.amdhsa_next_free_sgpr 28
		.amdhsa_accum_offset 80
		.amdhsa_reserve_vcc 1
		.amdhsa_float_round_mode_32 0
		.amdhsa_float_round_mode_16_64 0
		.amdhsa_float_denorm_mode_32 3
		.amdhsa_float_denorm_mode_16_64 3
		.amdhsa_dx10_clamp 1
		.amdhsa_ieee_mode 1
		.amdhsa_fp16_overflow 0
		.amdhsa_tg_split 0
		.amdhsa_exception_fp_ieee_invalid_op 0
		.amdhsa_exception_fp_denorm_src 0
		.amdhsa_exception_fp_ieee_div_zero 0
		.amdhsa_exception_fp_ieee_overflow 0
		.amdhsa_exception_fp_ieee_underflow 0
		.amdhsa_exception_fp_ieee_inexact 0
		.amdhsa_exception_int_div_zero 0
	.end_amdhsa_kernel
	.text
.Lfunc_end0:
	.size	fft_rtc_back_len80_factors_5_2_8_wgs_60_tpt_10_halfLds_dp_op_CI_CI_unitstride_sbrr_R2C_dirReg, .Lfunc_end0-fft_rtc_back_len80_factors_5_2_8_wgs_60_tpt_10_halfLds_dp_op_CI_CI_unitstride_sbrr_R2C_dirReg
                                        ; -- End function
	.section	.AMDGPU.csdata,"",@progbits
; Kernel info:
; codeLenInByte = 5380
; NumSgprs: 34
; NumVgprs: 78
; NumAgprs: 0
; TotalNumVgprs: 78
; ScratchSize: 0
; MemoryBound: 0
; FloatMode: 240
; IeeeMode: 1
; LDSByteSize: 0 bytes/workgroup (compile time only)
; SGPRBlocks: 4
; VGPRBlocks: 9
; NumSGPRsForWavesPerEU: 34
; NumVGPRsForWavesPerEU: 78
; AccumOffset: 80
; Occupancy: 6
; WaveLimiterHint : 1
; COMPUTE_PGM_RSRC2:SCRATCH_EN: 0
; COMPUTE_PGM_RSRC2:USER_SGPR: 2
; COMPUTE_PGM_RSRC2:TRAP_HANDLER: 0
; COMPUTE_PGM_RSRC2:TGID_X_EN: 1
; COMPUTE_PGM_RSRC2:TGID_Y_EN: 0
; COMPUTE_PGM_RSRC2:TGID_Z_EN: 0
; COMPUTE_PGM_RSRC2:TIDIG_COMP_CNT: 0
; COMPUTE_PGM_RSRC3_GFX90A:ACCUM_OFFSET: 19
; COMPUTE_PGM_RSRC3_GFX90A:TG_SPLIT: 0
	.text
	.p2alignl 6, 3212836864
	.fill 256, 4, 3212836864
	.type	__hip_cuid_b7cf5f7c803b977f,@object ; @__hip_cuid_b7cf5f7c803b977f
	.section	.bss,"aw",@nobits
	.globl	__hip_cuid_b7cf5f7c803b977f
__hip_cuid_b7cf5f7c803b977f:
	.byte	0                               ; 0x0
	.size	__hip_cuid_b7cf5f7c803b977f, 1

	.ident	"AMD clang version 19.0.0git (https://github.com/RadeonOpenCompute/llvm-project roc-6.4.0 25133 c7fe45cf4b819c5991fe208aaa96edf142730f1d)"
	.section	".note.GNU-stack","",@progbits
	.addrsig
	.addrsig_sym __hip_cuid_b7cf5f7c803b977f
	.amdgpu_metadata
---
amdhsa.kernels:
  - .agpr_count:     0
    .args:
      - .actual_access:  read_only
        .address_space:  global
        .offset:         0
        .size:           8
        .value_kind:     global_buffer
      - .offset:         8
        .size:           8
        .value_kind:     by_value
      - .actual_access:  read_only
        .address_space:  global
        .offset:         16
        .size:           8
        .value_kind:     global_buffer
      - .actual_access:  read_only
        .address_space:  global
        .offset:         24
        .size:           8
        .value_kind:     global_buffer
      - .actual_access:  read_only
        .address_space:  global
        .offset:         32
        .size:           8
        .value_kind:     global_buffer
      - .offset:         40
        .size:           8
        .value_kind:     by_value
      - .actual_access:  read_only
        .address_space:  global
        .offset:         48
        .size:           8
        .value_kind:     global_buffer
      - .actual_access:  read_only
        .address_space:  global
        .offset:         56
        .size:           8
        .value_kind:     global_buffer
      - .offset:         64
        .size:           4
        .value_kind:     by_value
      - .actual_access:  read_only
        .address_space:  global
        .offset:         72
        .size:           8
        .value_kind:     global_buffer
      - .actual_access:  read_only
        .address_space:  global
        .offset:         80
        .size:           8
        .value_kind:     global_buffer
      - .actual_access:  read_only
        .address_space:  global
        .offset:         88
        .size:           8
        .value_kind:     global_buffer
      - .actual_access:  write_only
        .address_space:  global
        .offset:         96
        .size:           8
        .value_kind:     global_buffer
    .group_segment_fixed_size: 0
    .kernarg_segment_align: 8
    .kernarg_segment_size: 104
    .language:       OpenCL C
    .language_version:
      - 2
      - 0
    .max_flat_workgroup_size: 60
    .name:           fft_rtc_back_len80_factors_5_2_8_wgs_60_tpt_10_halfLds_dp_op_CI_CI_unitstride_sbrr_R2C_dirReg
    .private_segment_fixed_size: 0
    .sgpr_count:     34
    .sgpr_spill_count: 0
    .symbol:         fft_rtc_back_len80_factors_5_2_8_wgs_60_tpt_10_halfLds_dp_op_CI_CI_unitstride_sbrr_R2C_dirReg.kd
    .uniform_work_group_size: 1
    .uses_dynamic_stack: false
    .vgpr_count:     78
    .vgpr_spill_count: 0
    .wavefront_size: 64
amdhsa.target:   amdgcn-amd-amdhsa--gfx950
amdhsa.version:
  - 1
  - 2
...

	.end_amdgpu_metadata
